;; amdgpu-corpus repo=zjin-lcf/HeCBench kind=compiled arch=gfx906 opt=O3
	.amdgcn_target "amdgcn-amd-amdhsa--gfx906"
	.amdhsa_code_object_version 6
	.section	.text._Z9conv3d_s1IfEvPKT_S2_PS0_iiiiiiii,"axG",@progbits,_Z9conv3d_s1IfEvPKT_S2_PS0_iiiiiiii,comdat
	.protected	_Z9conv3d_s1IfEvPKT_S2_PS0_iiiiiiii ; -- Begin function _Z9conv3d_s1IfEvPKT_S2_PS0_iiiiiiii
	.globl	_Z9conv3d_s1IfEvPKT_S2_PS0_iiiiiiii
	.p2align	8
	.type	_Z9conv3d_s1IfEvPKT_S2_PS0_iiiiiiii,@function
_Z9conv3d_s1IfEvPKT_S2_PS0_iiiiiiii:    ; @_Z9conv3d_s1IfEvPKT_S2_PS0_iiiiiiii
; %bb.0:
	s_load_dwordx8 s[12:19], s[4:5], 0x18
	s_waitcnt lgkmcnt(0)
	v_cvt_f32_u32_e32 v2, s19
	s_sub_i32 s0, 0, s19
	v_rcp_iflag_f32_e32 v2, v2
	v_mul_f32_e32 v2, 0x4f7ffffe, v2
	v_cvt_u32_f32_e32 v2, v2
	v_readfirstlane_b32 s1, v2
	s_mul_i32 s0, s0, s1
	s_mul_hi_u32 s0, s1, s0
	s_add_i32 s1, s1, s0
	s_mul_hi_u32 s0, s8, s1
	s_mul_i32 s1, s0, s19
	s_sub_i32 s1, s8, s1
	s_add_i32 s2, s0, 1
	s_sub_i32 s3, s1, s19
	s_cmp_ge_u32 s1, s19
	s_cselect_b32 s0, s2, s0
	s_cselect_b32 s1, s3, s1
	s_add_i32 s2, s0, 1
	s_cmp_ge_u32 s1, s19
	s_cselect_b32 s9, s2, s0
	s_lshl_b32 s24, s9, 4
	s_mul_i32 s9, s9, s19
	s_sub_i32 s0, s8, s9
	v_add_u32_e32 v5, s24, v1
	v_lshl_add_u32 v2, s0, 4, v0
	v_cmp_gt_i32_e32 vcc, s17, v5
	v_cmp_gt_i32_e64 s[0:1], s18, v2
	s_and_b64 s[0:1], vcc, s[0:1]
	s_and_saveexec_b64 s[2:3], s[0:1]
	s_cbranch_execz .LBB0_11
; %bb.1:
	s_load_dwordx2 s[2:3], s[4:5], 0x10
	s_cmp_lt_i32 s12, 1
	s_cbranch_scc1 .LBB0_9
; %bb.2:
	s_load_dwordx4 s[20:23], s[4:5], 0x0
	s_mul_i32 s4, s6, s15
	s_cmp_gt_i32 s14, 0
	s_mul_i32 s4, s4, s12
	s_cselect_b64 s[0:1], -1, 0
	s_add_i32 s24, s24, s4
	v_add_u32_e32 v1, s24, v1
	v_mul_lo_u32 v1, s16, v1
	s_mul_i32 s11, s14, s14
	s_mul_i32 s4, s7, s11
	;; [unrolled: 1-line block ×3, first 2 shown]
	s_lshl_b32 s4, s8, 4
	v_add3_u32 v0, v0, v1, s4
	s_lshl_b32 s4, s9, 4
	v_subrev_u32_e32 v7, s4, v0
	v_cndmask_b32_e64 v0, 0, 1, s[0:1]
	s_mov_b32 s10, 0
	s_mul_i32 s15, s16, s15
	v_mov_b32_e32 v6, 0
	v_cmp_ne_u32_e64 s[0:1], 1, v0
	s_branch .LBB0_4
.LBB0_3:                                ;   in Loop: Header=BB0_4 Depth=1
	s_add_i32 s10, s10, 1
	s_add_i32 s19, s19, s11
	s_cmp_eq_u32 s10, s12
	v_add_u32_e32 v7, s15, v7
	s_cbranch_scc1 .LBB0_10
.LBB0_4:                                ; =>This Loop Header: Depth=1
                                        ;     Child Loop BB0_6 Depth 2
                                        ;       Child Loop BB0_7 Depth 3
	s_and_b64 vcc, exec, s[0:1]
	s_cbranch_vccnz .LBB0_3
; %bb.5:                                ;   in Loop: Header=BB0_4 Depth=1
	s_mov_b32 s24, 0
	v_mov_b32_e32 v0, v7
	s_mov_b32 s4, s19
.LBB0_6:                                ;   Parent Loop BB0_4 Depth=1
                                        ; =>  This Loop Header: Depth=2
                                        ;       Child Loop BB0_7 Depth 3
	v_ashrrev_i32_e32 v1, 31, v0
	s_ashr_i32 s5, s4, 31
	v_lshlrev_b64 v[3:4], 2, v[0:1]
	s_lshl_b64 s[8:9], s[4:5], 2
	s_waitcnt lgkmcnt(0)
	s_add_u32 s8, s22, s8
	v_mov_b32_e32 v1, s21
	v_add_co_u32_e32 v3, vcc, s20, v3
	s_addc_u32 s9, s23, s9
	v_addc_co_u32_e32 v4, vcc, v1, v4, vcc
	s_mov_b32 s5, s14
.LBB0_7:                                ;   Parent Loop BB0_4 Depth=1
                                        ;     Parent Loop BB0_6 Depth=2
                                        ; =>    This Inner Loop Header: Depth=3
	global_load_dword v1, v[3:4], off
	s_load_dword s25, s[8:9], 0x0
	s_add_i32 s5, s5, -1
	s_add_u32 s8, s8, 4
	v_add_co_u32_e32 v3, vcc, 4, v3
	s_addc_u32 s9, s9, 0
	v_addc_co_u32_e32 v4, vcc, 0, v4, vcc
	s_cmp_eq_u32 s5, 0
	s_waitcnt vmcnt(0) lgkmcnt(0)
	v_fmac_f32_e32 v6, s25, v1
	s_cbranch_scc0 .LBB0_7
; %bb.8:                                ;   in Loop: Header=BB0_6 Depth=2
	s_add_i32 s24, s24, 1
	s_add_i32 s4, s4, s14
	s_cmp_eq_u32 s24, s14
	v_add_u32_e32 v0, s16, v0
	s_cbranch_scc0 .LBB0_6
	s_branch .LBB0_3
.LBB0_9:
	v_mov_b32_e32 v6, 0
.LBB0_10:
	s_mul_i32 s0, s13, s6
	s_add_i32 s0, s0, s7
	s_mul_i32 s0, s17, s0
	v_add_u32_e32 v0, s0, v5
	v_mad_u64_u32 v[0:1], s[0:1], v0, s18, v[2:3]
	s_waitcnt lgkmcnt(0)
	v_mov_b32_e32 v2, s3
	v_ashrrev_i32_e32 v1, 31, v0
	v_lshlrev_b64 v[0:1], 2, v[0:1]
	v_add_co_u32_e32 v0, vcc, s2, v0
	v_addc_co_u32_e32 v1, vcc, v2, v1, vcc
	global_store_dword v[0:1], v6, off
.LBB0_11:
	s_endpgm
	.section	.rodata,"a",@progbits
	.p2align	6, 0x0
	.amdhsa_kernel _Z9conv3d_s1IfEvPKT_S2_PS0_iiiiiiii
		.amdhsa_group_segment_fixed_size 0
		.amdhsa_private_segment_fixed_size 0
		.amdhsa_kernarg_size 56
		.amdhsa_user_sgpr_count 6
		.amdhsa_user_sgpr_private_segment_buffer 1
		.amdhsa_user_sgpr_dispatch_ptr 0
		.amdhsa_user_sgpr_queue_ptr 0
		.amdhsa_user_sgpr_kernarg_segment_ptr 1
		.amdhsa_user_sgpr_dispatch_id 0
		.amdhsa_user_sgpr_flat_scratch_init 0
		.amdhsa_user_sgpr_private_segment_size 0
		.amdhsa_uses_dynamic_stack 0
		.amdhsa_system_sgpr_private_segment_wavefront_offset 0
		.amdhsa_system_sgpr_workgroup_id_x 1
		.amdhsa_system_sgpr_workgroup_id_y 1
		.amdhsa_system_sgpr_workgroup_id_z 1
		.amdhsa_system_sgpr_workgroup_info 0
		.amdhsa_system_vgpr_workitem_id 1
		.amdhsa_next_free_vgpr 8
		.amdhsa_next_free_sgpr 26
		.amdhsa_reserve_vcc 1
		.amdhsa_reserve_flat_scratch 0
		.amdhsa_float_round_mode_32 0
		.amdhsa_float_round_mode_16_64 0
		.amdhsa_float_denorm_mode_32 3
		.amdhsa_float_denorm_mode_16_64 3
		.amdhsa_dx10_clamp 1
		.amdhsa_ieee_mode 1
		.amdhsa_fp16_overflow 0
		.amdhsa_exception_fp_ieee_invalid_op 0
		.amdhsa_exception_fp_denorm_src 0
		.amdhsa_exception_fp_ieee_div_zero 0
		.amdhsa_exception_fp_ieee_overflow 0
		.amdhsa_exception_fp_ieee_underflow 0
		.amdhsa_exception_fp_ieee_inexact 0
		.amdhsa_exception_int_div_zero 0
	.end_amdhsa_kernel
	.section	.text._Z9conv3d_s1IfEvPKT_S2_PS0_iiiiiiii,"axG",@progbits,_Z9conv3d_s1IfEvPKT_S2_PS0_iiiiiiii,comdat
.Lfunc_end0:
	.size	_Z9conv3d_s1IfEvPKT_S2_PS0_iiiiiiii, .Lfunc_end0-_Z9conv3d_s1IfEvPKT_S2_PS0_iiiiiiii
                                        ; -- End function
	.set _Z9conv3d_s1IfEvPKT_S2_PS0_iiiiiiii.num_vgpr, 8
	.set _Z9conv3d_s1IfEvPKT_S2_PS0_iiiiiiii.num_agpr, 0
	.set _Z9conv3d_s1IfEvPKT_S2_PS0_iiiiiiii.numbered_sgpr, 26
	.set _Z9conv3d_s1IfEvPKT_S2_PS0_iiiiiiii.num_named_barrier, 0
	.set _Z9conv3d_s1IfEvPKT_S2_PS0_iiiiiiii.private_seg_size, 0
	.set _Z9conv3d_s1IfEvPKT_S2_PS0_iiiiiiii.uses_vcc, 1
	.set _Z9conv3d_s1IfEvPKT_S2_PS0_iiiiiiii.uses_flat_scratch, 0
	.set _Z9conv3d_s1IfEvPKT_S2_PS0_iiiiiiii.has_dyn_sized_stack, 0
	.set _Z9conv3d_s1IfEvPKT_S2_PS0_iiiiiiii.has_recursion, 0
	.set _Z9conv3d_s1IfEvPKT_S2_PS0_iiiiiiii.has_indirect_call, 0
	.section	.AMDGPU.csdata,"",@progbits
; Kernel info:
; codeLenInByte = 496
; TotalNumSgprs: 30
; NumVgprs: 8
; ScratchSize: 0
; MemoryBound: 0
; FloatMode: 240
; IeeeMode: 1
; LDSByteSize: 0 bytes/workgroup (compile time only)
; SGPRBlocks: 3
; VGPRBlocks: 1
; NumSGPRsForWavesPerEU: 30
; NumVGPRsForWavesPerEU: 8
; Occupancy: 10
; WaveLimiterHint : 0
; COMPUTE_PGM_RSRC2:SCRATCH_EN: 0
; COMPUTE_PGM_RSRC2:USER_SGPR: 6
; COMPUTE_PGM_RSRC2:TRAP_HANDLER: 0
; COMPUTE_PGM_RSRC2:TGID_X_EN: 1
; COMPUTE_PGM_RSRC2:TGID_Y_EN: 1
; COMPUTE_PGM_RSRC2:TGID_Z_EN: 1
; COMPUTE_PGM_RSRC2:TIDIG_COMP_CNT: 1
	.section	.text._Z9conv3d_s2IfEvPKT_S2_PS0_iiiiiiii,"axG",@progbits,_Z9conv3d_s2IfEvPKT_S2_PS0_iiiiiiii,comdat
	.protected	_Z9conv3d_s2IfEvPKT_S2_PS0_iiiiiiii ; -- Begin function _Z9conv3d_s2IfEvPKT_S2_PS0_iiiiiiii
	.globl	_Z9conv3d_s2IfEvPKT_S2_PS0_iiiiiiii
	.p2align	8
	.type	_Z9conv3d_s2IfEvPKT_S2_PS0_iiiiiiii,@function
_Z9conv3d_s2IfEvPKT_S2_PS0_iiiiiiii:    ; @_Z9conv3d_s2IfEvPKT_S2_PS0_iiiiiiii
; %bb.0:
	s_load_dwordx8 s[12:19], s[4:5], 0x18
	s_waitcnt lgkmcnt(0)
	v_cvt_f32_u32_e32 v2, s19
	s_sub_i32 s0, 0, s19
	v_rcp_iflag_f32_e32 v2, v2
	v_mul_f32_e32 v2, 0x4f7ffffe, v2
	v_cvt_u32_f32_e32 v2, v2
	v_readfirstlane_b32 s1, v2
	s_mul_i32 s0, s0, s1
	s_mul_hi_u32 s0, s1, s0
	s_add_i32 s1, s1, s0
	s_mul_hi_u32 s0, s7, s1
	s_mul_i32 s1, s0, s19
	s_sub_i32 s1, s7, s1
	s_add_i32 s2, s0, 1
	s_sub_i32 s3, s1, s19
	s_cmp_ge_u32 s1, s19
	s_cselect_b32 s0, s2, s0
	s_cselect_b32 s1, s3, s1
	s_add_i32 s2, s0, 1
	s_cmp_ge_u32 s1, s19
	s_cselect_b32 s10, s2, s0
	s_lshl_b32 s11, s10, 4
	s_mul_i32 s10, s10, s19
	s_sub_i32 s0, s7, s10
	v_add_u32_e32 v5, s11, v1
	v_lshl_add_u32 v2, s0, 4, v0
	v_cmp_gt_i32_e32 vcc, s17, v5
	v_cmp_gt_i32_e64 s[0:1], s18, v2
	s_and_b64 s[0:1], vcc, s[0:1]
	s_and_saveexec_b64 s[2:3], s[0:1]
	s_cbranch_execz .LBB1_11
; %bb.1:
	s_load_dwordx2 s[2:3], s[4:5], 0x10
	s_cmp_lt_i32 s12, 1
	s_cbranch_scc1 .LBB1_9
; %bb.2:
	s_load_dwordx4 s[20:23], s[4:5], 0x0
	s_mul_i32 s4, s8, s15
	s_cmp_gt_i32 s14, 0
	s_mul_i32 s4, s4, s12
	s_cselect_b64 s[0:1], -1, 0
	s_add_i32 s11, s11, s4
	v_add_u32_e32 v1, s11, v1
	v_mul_lo_u32 v1, s16, v1
	s_mul_i32 s19, s14, s14
	s_mul_i32 s4, s6, s19
	;; [unrolled: 1-line block ×3, first 2 shown]
	s_lshl_b32 s4, s7, 4
	v_add3_u32 v0, v0, v1, s4
	s_lshl_b32 s4, s10, 4
	v_subrev_u32_e32 v7, s4, v0
	v_cndmask_b32_e64 v0, 0, 1, s[0:1]
	s_mov_b32 s9, 0
	s_mul_i32 s7, s16, s15
	v_mov_b32_e32 v6, 0
	v_cmp_ne_u32_e64 s[0:1], 1, v0
	s_branch .LBB1_4
.LBB1_3:                                ;   in Loop: Header=BB1_4 Depth=1
	s_add_i32 s9, s9, 1
	s_add_i32 s24, s24, s19
	s_cmp_eq_u32 s9, s12
	v_add_u32_e32 v7, s7, v7
	s_cbranch_scc1 .LBB1_10
.LBB1_4:                                ; =>This Loop Header: Depth=1
                                        ;     Child Loop BB1_6 Depth 2
                                        ;       Child Loop BB1_7 Depth 3
	s_and_b64 vcc, exec, s[0:1]
	s_cbranch_vccnz .LBB1_3
; %bb.5:                                ;   in Loop: Header=BB1_4 Depth=1
	s_mov_b32 s15, 0
	v_mov_b32_e32 v0, v7
	s_mov_b32 s4, s24
.LBB1_6:                                ;   Parent Loop BB1_4 Depth=1
                                        ; =>  This Loop Header: Depth=2
                                        ;       Child Loop BB1_7 Depth 3
	v_ashrrev_i32_e32 v1, 31, v0
	s_ashr_i32 s5, s4, 31
	v_lshlrev_b64 v[3:4], 2, v[0:1]
	s_lshl_b64 s[10:11], s[4:5], 2
	s_waitcnt lgkmcnt(0)
	s_add_u32 s10, s22, s10
	v_mov_b32_e32 v1, s21
	v_add_co_u32_e32 v3, vcc, s20, v3
	s_addc_u32 s11, s23, s11
	v_addc_co_u32_e32 v4, vcc, v1, v4, vcc
	s_mov_b32 s5, s14
.LBB1_7:                                ;   Parent Loop BB1_4 Depth=1
                                        ;     Parent Loop BB1_6 Depth=2
                                        ; =>    This Inner Loop Header: Depth=3
	global_load_dword v1, v[3:4], off
	s_load_dword s25, s[10:11], 0x0
	s_add_i32 s5, s5, -1
	s_add_u32 s10, s10, 4
	v_add_co_u32_e32 v3, vcc, 4, v3
	s_addc_u32 s11, s11, 0
	v_addc_co_u32_e32 v4, vcc, 0, v4, vcc
	s_cmp_eq_u32 s5, 0
	s_waitcnt vmcnt(0) lgkmcnt(0)
	v_fmac_f32_e32 v6, s25, v1
	s_cbranch_scc0 .LBB1_7
; %bb.8:                                ;   in Loop: Header=BB1_6 Depth=2
	s_add_i32 s15, s15, 1
	s_add_i32 s4, s4, s14
	s_cmp_eq_u32 s15, s14
	v_add_u32_e32 v0, s16, v0
	s_cbranch_scc0 .LBB1_6
	s_branch .LBB1_3
.LBB1_9:
	v_mov_b32_e32 v6, 0
.LBB1_10:
	s_mul_i32 s0, s13, s8
	s_add_i32 s0, s0, s6
	s_mul_i32 s0, s17, s0
	v_add_u32_e32 v0, s0, v5
	v_mad_u64_u32 v[0:1], s[0:1], v0, s18, v[2:3]
	s_waitcnt lgkmcnt(0)
	v_mov_b32_e32 v2, s3
	v_ashrrev_i32_e32 v1, 31, v0
	v_lshlrev_b64 v[0:1], 2, v[0:1]
	v_add_co_u32_e32 v0, vcc, s2, v0
	v_addc_co_u32_e32 v1, vcc, v2, v1, vcc
	global_store_dword v[0:1], v6, off
.LBB1_11:
	s_endpgm
	.section	.rodata,"a",@progbits
	.p2align	6, 0x0
	.amdhsa_kernel _Z9conv3d_s2IfEvPKT_S2_PS0_iiiiiiii
		.amdhsa_group_segment_fixed_size 0
		.amdhsa_private_segment_fixed_size 0
		.amdhsa_kernarg_size 56
		.amdhsa_user_sgpr_count 6
		.amdhsa_user_sgpr_private_segment_buffer 1
		.amdhsa_user_sgpr_dispatch_ptr 0
		.amdhsa_user_sgpr_queue_ptr 0
		.amdhsa_user_sgpr_kernarg_segment_ptr 1
		.amdhsa_user_sgpr_dispatch_id 0
		.amdhsa_user_sgpr_flat_scratch_init 0
		.amdhsa_user_sgpr_private_segment_size 0
		.amdhsa_uses_dynamic_stack 0
		.amdhsa_system_sgpr_private_segment_wavefront_offset 0
		.amdhsa_system_sgpr_workgroup_id_x 1
		.amdhsa_system_sgpr_workgroup_id_y 1
		.amdhsa_system_sgpr_workgroup_id_z 1
		.amdhsa_system_sgpr_workgroup_info 0
		.amdhsa_system_vgpr_workitem_id 1
		.amdhsa_next_free_vgpr 8
		.amdhsa_next_free_sgpr 26
		.amdhsa_reserve_vcc 1
		.amdhsa_reserve_flat_scratch 0
		.amdhsa_float_round_mode_32 0
		.amdhsa_float_round_mode_16_64 0
		.amdhsa_float_denorm_mode_32 3
		.amdhsa_float_denorm_mode_16_64 3
		.amdhsa_dx10_clamp 1
		.amdhsa_ieee_mode 1
		.amdhsa_fp16_overflow 0
		.amdhsa_exception_fp_ieee_invalid_op 0
		.amdhsa_exception_fp_denorm_src 0
		.amdhsa_exception_fp_ieee_div_zero 0
		.amdhsa_exception_fp_ieee_overflow 0
		.amdhsa_exception_fp_ieee_underflow 0
		.amdhsa_exception_fp_ieee_inexact 0
		.amdhsa_exception_int_div_zero 0
	.end_amdhsa_kernel
	.section	.text._Z9conv3d_s2IfEvPKT_S2_PS0_iiiiiiii,"axG",@progbits,_Z9conv3d_s2IfEvPKT_S2_PS0_iiiiiiii,comdat
.Lfunc_end1:
	.size	_Z9conv3d_s2IfEvPKT_S2_PS0_iiiiiiii, .Lfunc_end1-_Z9conv3d_s2IfEvPKT_S2_PS0_iiiiiiii
                                        ; -- End function
	.set _Z9conv3d_s2IfEvPKT_S2_PS0_iiiiiiii.num_vgpr, 8
	.set _Z9conv3d_s2IfEvPKT_S2_PS0_iiiiiiii.num_agpr, 0
	.set _Z9conv3d_s2IfEvPKT_S2_PS0_iiiiiiii.numbered_sgpr, 26
	.set _Z9conv3d_s2IfEvPKT_S2_PS0_iiiiiiii.num_named_barrier, 0
	.set _Z9conv3d_s2IfEvPKT_S2_PS0_iiiiiiii.private_seg_size, 0
	.set _Z9conv3d_s2IfEvPKT_S2_PS0_iiiiiiii.uses_vcc, 1
	.set _Z9conv3d_s2IfEvPKT_S2_PS0_iiiiiiii.uses_flat_scratch, 0
	.set _Z9conv3d_s2IfEvPKT_S2_PS0_iiiiiiii.has_dyn_sized_stack, 0
	.set _Z9conv3d_s2IfEvPKT_S2_PS0_iiiiiiii.has_recursion, 0
	.set _Z9conv3d_s2IfEvPKT_S2_PS0_iiiiiiii.has_indirect_call, 0
	.section	.AMDGPU.csdata,"",@progbits
; Kernel info:
; codeLenInByte = 496
; TotalNumSgprs: 30
; NumVgprs: 8
; ScratchSize: 0
; MemoryBound: 0
; FloatMode: 240
; IeeeMode: 1
; LDSByteSize: 0 bytes/workgroup (compile time only)
; SGPRBlocks: 3
; VGPRBlocks: 1
; NumSGPRsForWavesPerEU: 30
; NumVGPRsForWavesPerEU: 8
; Occupancy: 10
; WaveLimiterHint : 0
; COMPUTE_PGM_RSRC2:SCRATCH_EN: 0
; COMPUTE_PGM_RSRC2:USER_SGPR: 6
; COMPUTE_PGM_RSRC2:TRAP_HANDLER: 0
; COMPUTE_PGM_RSRC2:TGID_X_EN: 1
; COMPUTE_PGM_RSRC2:TGID_Y_EN: 1
; COMPUTE_PGM_RSRC2:TGID_Z_EN: 1
; COMPUTE_PGM_RSRC2:TIDIG_COMP_CNT: 1
	.section	.text._Z9conv3d_s3IfEvPKT_S2_PS0_iiiiiiii,"axG",@progbits,_Z9conv3d_s3IfEvPKT_S2_PS0_iiiiiiii,comdat
	.protected	_Z9conv3d_s3IfEvPKT_S2_PS0_iiiiiiii ; -- Begin function _Z9conv3d_s3IfEvPKT_S2_PS0_iiiiiiii
	.globl	_Z9conv3d_s3IfEvPKT_S2_PS0_iiiiiiii
	.p2align	8
	.type	_Z9conv3d_s3IfEvPKT_S2_PS0_iiiiiiii,@function
_Z9conv3d_s3IfEvPKT_S2_PS0_iiiiiiii:    ; @_Z9conv3d_s3IfEvPKT_S2_PS0_iiiiiiii
; %bb.0:
	s_load_dwordx8 s[12:19], s[4:5], 0x18
	s_waitcnt lgkmcnt(0)
	v_cvt_f32_u32_e32 v2, s19
	s_sub_i32 s0, 0, s19
	v_rcp_iflag_f32_e32 v2, v2
	v_mul_f32_e32 v2, 0x4f7ffffe, v2
	v_cvt_u32_f32_e32 v2, v2
	v_readfirstlane_b32 s1, v2
	s_mul_i32 s0, s0, s1
	s_mul_hi_u32 s0, s1, s0
	s_add_i32 s1, s1, s0
	s_mul_hi_u32 s0, s6, s1
	s_mul_i32 s1, s0, s19
	s_sub_i32 s1, s6, s1
	s_add_i32 s2, s0, 1
	s_sub_i32 s3, s1, s19
	s_cmp_ge_u32 s1, s19
	s_cselect_b32 s0, s2, s0
	s_cselect_b32 s1, s3, s1
	s_add_i32 s2, s0, 1
	s_cmp_ge_u32 s1, s19
	s_cselect_b32 s10, s2, s0
	s_lshl_b32 s11, s10, 4
	s_mul_i32 s10, s10, s19
	s_sub_i32 s0, s6, s10
	v_add_u32_e32 v5, s11, v1
	v_lshl_add_u32 v2, s0, 4, v0
	v_cmp_gt_i32_e32 vcc, s17, v5
	v_cmp_gt_i32_e64 s[0:1], s18, v2
	s_and_b64 s[0:1], vcc, s[0:1]
	s_and_saveexec_b64 s[2:3], s[0:1]
	s_cbranch_execz .LBB2_11
; %bb.1:
	s_load_dwordx2 s[2:3], s[4:5], 0x10
	s_cmp_lt_i32 s12, 1
	s_cbranch_scc1 .LBB2_9
; %bb.2:
	s_load_dwordx4 s[20:23], s[4:5], 0x0
	s_mul_i32 s4, s7, s15
	s_cmp_gt_i32 s14, 0
	s_mul_i32 s4, s4, s12
	s_cselect_b64 s[0:1], -1, 0
	s_add_i32 s11, s11, s4
	v_add_u32_e32 v1, s11, v1
	v_mul_lo_u32 v1, s16, v1
	s_mul_i32 s19, s14, s14
	s_mul_i32 s4, s8, s19
	;; [unrolled: 1-line block ×3, first 2 shown]
	s_lshl_b32 s4, s6, 4
	v_add3_u32 v0, v0, v1, s4
	s_lshl_b32 s4, s10, 4
	v_subrev_u32_e32 v7, s4, v0
	v_cndmask_b32_e64 v0, 0, 1, s[0:1]
	s_mov_b32 s9, 0
	s_mul_i32 s6, s16, s15
	v_mov_b32_e32 v6, 0
	v_cmp_ne_u32_e64 s[0:1], 1, v0
	s_branch .LBB2_4
.LBB2_3:                                ;   in Loop: Header=BB2_4 Depth=1
	s_add_i32 s9, s9, 1
	s_add_i32 s24, s24, s19
	s_cmp_eq_u32 s9, s12
	v_add_u32_e32 v7, s6, v7
	s_cbranch_scc1 .LBB2_10
.LBB2_4:                                ; =>This Loop Header: Depth=1
                                        ;     Child Loop BB2_6 Depth 2
                                        ;       Child Loop BB2_7 Depth 3
	s_and_b64 vcc, exec, s[0:1]
	s_cbranch_vccnz .LBB2_3
; %bb.5:                                ;   in Loop: Header=BB2_4 Depth=1
	s_mov_b32 s15, 0
	v_mov_b32_e32 v0, v7
	s_mov_b32 s4, s24
.LBB2_6:                                ;   Parent Loop BB2_4 Depth=1
                                        ; =>  This Loop Header: Depth=2
                                        ;       Child Loop BB2_7 Depth 3
	v_ashrrev_i32_e32 v1, 31, v0
	s_ashr_i32 s5, s4, 31
	v_lshlrev_b64 v[3:4], 2, v[0:1]
	s_lshl_b64 s[10:11], s[4:5], 2
	s_waitcnt lgkmcnt(0)
	s_add_u32 s10, s22, s10
	v_mov_b32_e32 v1, s21
	v_add_co_u32_e32 v3, vcc, s20, v3
	s_addc_u32 s11, s23, s11
	v_addc_co_u32_e32 v4, vcc, v1, v4, vcc
	s_mov_b32 s5, s14
.LBB2_7:                                ;   Parent Loop BB2_4 Depth=1
                                        ;     Parent Loop BB2_6 Depth=2
                                        ; =>    This Inner Loop Header: Depth=3
	global_load_dword v1, v[3:4], off
	s_load_dword s25, s[10:11], 0x0
	s_add_i32 s5, s5, -1
	s_add_u32 s10, s10, 4
	v_add_co_u32_e32 v3, vcc, 4, v3
	s_addc_u32 s11, s11, 0
	v_addc_co_u32_e32 v4, vcc, 0, v4, vcc
	s_cmp_eq_u32 s5, 0
	s_waitcnt vmcnt(0) lgkmcnt(0)
	v_fmac_f32_e32 v6, s25, v1
	s_cbranch_scc0 .LBB2_7
; %bb.8:                                ;   in Loop: Header=BB2_6 Depth=2
	s_add_i32 s15, s15, 1
	s_add_i32 s4, s4, s14
	s_cmp_eq_u32 s15, s14
	v_add_u32_e32 v0, s16, v0
	s_cbranch_scc0 .LBB2_6
	s_branch .LBB2_3
.LBB2_9:
	v_mov_b32_e32 v6, 0
.LBB2_10:
	s_mul_i32 s0, s13, s7
	s_add_i32 s0, s0, s8
	s_mul_i32 s0, s17, s0
	v_add_u32_e32 v0, s0, v5
	v_mad_u64_u32 v[0:1], s[0:1], v0, s18, v[2:3]
	s_waitcnt lgkmcnt(0)
	v_mov_b32_e32 v2, s3
	v_ashrrev_i32_e32 v1, 31, v0
	v_lshlrev_b64 v[0:1], 2, v[0:1]
	v_add_co_u32_e32 v0, vcc, s2, v0
	v_addc_co_u32_e32 v1, vcc, v2, v1, vcc
	global_store_dword v[0:1], v6, off
.LBB2_11:
	s_endpgm
	.section	.rodata,"a",@progbits
	.p2align	6, 0x0
	.amdhsa_kernel _Z9conv3d_s3IfEvPKT_S2_PS0_iiiiiiii
		.amdhsa_group_segment_fixed_size 0
		.amdhsa_private_segment_fixed_size 0
		.amdhsa_kernarg_size 56
		.amdhsa_user_sgpr_count 6
		.amdhsa_user_sgpr_private_segment_buffer 1
		.amdhsa_user_sgpr_dispatch_ptr 0
		.amdhsa_user_sgpr_queue_ptr 0
		.amdhsa_user_sgpr_kernarg_segment_ptr 1
		.amdhsa_user_sgpr_dispatch_id 0
		.amdhsa_user_sgpr_flat_scratch_init 0
		.amdhsa_user_sgpr_private_segment_size 0
		.amdhsa_uses_dynamic_stack 0
		.amdhsa_system_sgpr_private_segment_wavefront_offset 0
		.amdhsa_system_sgpr_workgroup_id_x 1
		.amdhsa_system_sgpr_workgroup_id_y 1
		.amdhsa_system_sgpr_workgroup_id_z 1
		.amdhsa_system_sgpr_workgroup_info 0
		.amdhsa_system_vgpr_workitem_id 1
		.amdhsa_next_free_vgpr 8
		.amdhsa_next_free_sgpr 26
		.amdhsa_reserve_vcc 1
		.amdhsa_reserve_flat_scratch 0
		.amdhsa_float_round_mode_32 0
		.amdhsa_float_round_mode_16_64 0
		.amdhsa_float_denorm_mode_32 3
		.amdhsa_float_denorm_mode_16_64 3
		.amdhsa_dx10_clamp 1
		.amdhsa_ieee_mode 1
		.amdhsa_fp16_overflow 0
		.amdhsa_exception_fp_ieee_invalid_op 0
		.amdhsa_exception_fp_denorm_src 0
		.amdhsa_exception_fp_ieee_div_zero 0
		.amdhsa_exception_fp_ieee_overflow 0
		.amdhsa_exception_fp_ieee_underflow 0
		.amdhsa_exception_fp_ieee_inexact 0
		.amdhsa_exception_int_div_zero 0
	.end_amdhsa_kernel
	.section	.text._Z9conv3d_s3IfEvPKT_S2_PS0_iiiiiiii,"axG",@progbits,_Z9conv3d_s3IfEvPKT_S2_PS0_iiiiiiii,comdat
.Lfunc_end2:
	.size	_Z9conv3d_s3IfEvPKT_S2_PS0_iiiiiiii, .Lfunc_end2-_Z9conv3d_s3IfEvPKT_S2_PS0_iiiiiiii
                                        ; -- End function
	.set _Z9conv3d_s3IfEvPKT_S2_PS0_iiiiiiii.num_vgpr, 8
	.set _Z9conv3d_s3IfEvPKT_S2_PS0_iiiiiiii.num_agpr, 0
	.set _Z9conv3d_s3IfEvPKT_S2_PS0_iiiiiiii.numbered_sgpr, 26
	.set _Z9conv3d_s3IfEvPKT_S2_PS0_iiiiiiii.num_named_barrier, 0
	.set _Z9conv3d_s3IfEvPKT_S2_PS0_iiiiiiii.private_seg_size, 0
	.set _Z9conv3d_s3IfEvPKT_S2_PS0_iiiiiiii.uses_vcc, 1
	.set _Z9conv3d_s3IfEvPKT_S2_PS0_iiiiiiii.uses_flat_scratch, 0
	.set _Z9conv3d_s3IfEvPKT_S2_PS0_iiiiiiii.has_dyn_sized_stack, 0
	.set _Z9conv3d_s3IfEvPKT_S2_PS0_iiiiiiii.has_recursion, 0
	.set _Z9conv3d_s3IfEvPKT_S2_PS0_iiiiiiii.has_indirect_call, 0
	.section	.AMDGPU.csdata,"",@progbits
; Kernel info:
; codeLenInByte = 496
; TotalNumSgprs: 30
; NumVgprs: 8
; ScratchSize: 0
; MemoryBound: 0
; FloatMode: 240
; IeeeMode: 1
; LDSByteSize: 0 bytes/workgroup (compile time only)
; SGPRBlocks: 3
; VGPRBlocks: 1
; NumSGPRsForWavesPerEU: 30
; NumVGPRsForWavesPerEU: 8
; Occupancy: 10
; WaveLimiterHint : 0
; COMPUTE_PGM_RSRC2:SCRATCH_EN: 0
; COMPUTE_PGM_RSRC2:USER_SGPR: 6
; COMPUTE_PGM_RSRC2:TRAP_HANDLER: 0
; COMPUTE_PGM_RSRC2:TGID_X_EN: 1
; COMPUTE_PGM_RSRC2:TGID_Y_EN: 1
; COMPUTE_PGM_RSRC2:TGID_Z_EN: 1
; COMPUTE_PGM_RSRC2:TIDIG_COMP_CNT: 1
	.section	.AMDGPU.gpr_maximums,"",@progbits
	.set amdgpu.max_num_vgpr, 0
	.set amdgpu.max_num_agpr, 0
	.set amdgpu.max_num_sgpr, 0
	.section	.AMDGPU.csdata,"",@progbits
	.type	__hip_cuid_e994e404192e2172,@object ; @__hip_cuid_e994e404192e2172
	.section	.bss,"aw",@nobits
	.globl	__hip_cuid_e994e404192e2172
__hip_cuid_e994e404192e2172:
	.byte	0                               ; 0x0
	.size	__hip_cuid_e994e404192e2172, 1

	.ident	"AMD clang version 22.0.0git (https://github.com/RadeonOpenCompute/llvm-project roc-7.2.4 26084 f58b06dce1f9c15707c5f808fd002e18c2accf7e)"
	.section	".note.GNU-stack","",@progbits
	.addrsig
	.addrsig_sym __hip_cuid_e994e404192e2172
	.amdgpu_metadata
---
amdhsa.kernels:
  - .args:
      - .actual_access:  read_only
        .address_space:  global
        .offset:         0
        .size:           8
        .value_kind:     global_buffer
      - .actual_access:  read_only
        .address_space:  global
        .offset:         8
        .size:           8
        .value_kind:     global_buffer
      - .actual_access:  write_only
        .address_space:  global
        .offset:         16
        .size:           8
        .value_kind:     global_buffer
      - .offset:         24
        .size:           4
        .value_kind:     by_value
      - .offset:         28
        .size:           4
        .value_kind:     by_value
      - .offset:         32
        .size:           4
        .value_kind:     by_value
      - .offset:         36
        .size:           4
        .value_kind:     by_value
      - .offset:         40
        .size:           4
        .value_kind:     by_value
      - .offset:         44
        .size:           4
        .value_kind:     by_value
      - .offset:         48
        .size:           4
        .value_kind:     by_value
      - .offset:         52
        .size:           4
        .value_kind:     by_value
    .group_segment_fixed_size: 0
    .kernarg_segment_align: 8
    .kernarg_segment_size: 56
    .language:       OpenCL C
    .language_version:
      - 2
      - 0
    .max_flat_workgroup_size: 1024
    .name:           _Z9conv3d_s1IfEvPKT_S2_PS0_iiiiiiii
    .private_segment_fixed_size: 0
    .sgpr_count:     30
    .sgpr_spill_count: 0
    .symbol:         _Z9conv3d_s1IfEvPKT_S2_PS0_iiiiiiii.kd
    .uniform_work_group_size: 1
    .uses_dynamic_stack: false
    .vgpr_count:     8
    .vgpr_spill_count: 0
    .wavefront_size: 64
  - .args:
      - .actual_access:  read_only
        .address_space:  global
        .offset:         0
        .size:           8
        .value_kind:     global_buffer
      - .actual_access:  read_only
        .address_space:  global
        .offset:         8
        .size:           8
        .value_kind:     global_buffer
      - .actual_access:  write_only
        .address_space:  global
        .offset:         16
        .size:           8
        .value_kind:     global_buffer
      - .offset:         24
        .size:           4
        .value_kind:     by_value
      - .offset:         28
        .size:           4
        .value_kind:     by_value
      - .offset:         32
        .size:           4
        .value_kind:     by_value
      - .offset:         36
        .size:           4
        .value_kind:     by_value
      - .offset:         40
        .size:           4
        .value_kind:     by_value
      - .offset:         44
        .size:           4
        .value_kind:     by_value
      - .offset:         48
        .size:           4
        .value_kind:     by_value
      - .offset:         52
        .size:           4
        .value_kind:     by_value
    .group_segment_fixed_size: 0
    .kernarg_segment_align: 8
    .kernarg_segment_size: 56
    .language:       OpenCL C
    .language_version:
      - 2
      - 0
    .max_flat_workgroup_size: 1024
    .name:           _Z9conv3d_s2IfEvPKT_S2_PS0_iiiiiiii
    .private_segment_fixed_size: 0
    .sgpr_count:     30
    .sgpr_spill_count: 0
    .symbol:         _Z9conv3d_s2IfEvPKT_S2_PS0_iiiiiiii.kd
    .uniform_work_group_size: 1
    .uses_dynamic_stack: false
    .vgpr_count:     8
    .vgpr_spill_count: 0
    .wavefront_size: 64
  - .args:
      - .actual_access:  read_only
        .address_space:  global
        .offset:         0
        .size:           8
        .value_kind:     global_buffer
      - .actual_access:  read_only
        .address_space:  global
        .offset:         8
        .size:           8
        .value_kind:     global_buffer
      - .actual_access:  write_only
        .address_space:  global
        .offset:         16
        .size:           8
        .value_kind:     global_buffer
      - .offset:         24
        .size:           4
        .value_kind:     by_value
      - .offset:         28
        .size:           4
        .value_kind:     by_value
      - .offset:         32
        .size:           4
        .value_kind:     by_value
      - .offset:         36
        .size:           4
        .value_kind:     by_value
      - .offset:         40
        .size:           4
        .value_kind:     by_value
      - .offset:         44
        .size:           4
        .value_kind:     by_value
      - .offset:         48
        .size:           4
        .value_kind:     by_value
      - .offset:         52
        .size:           4
        .value_kind:     by_value
    .group_segment_fixed_size: 0
    .kernarg_segment_align: 8
    .kernarg_segment_size: 56
    .language:       OpenCL C
    .language_version:
      - 2
      - 0
    .max_flat_workgroup_size: 1024
    .name:           _Z9conv3d_s3IfEvPKT_S2_PS0_iiiiiiii
    .private_segment_fixed_size: 0
    .sgpr_count:     30
    .sgpr_spill_count: 0
    .symbol:         _Z9conv3d_s3IfEvPKT_S2_PS0_iiiiiiii.kd
    .uniform_work_group_size: 1
    .uses_dynamic_stack: false
    .vgpr_count:     8
    .vgpr_spill_count: 0
    .wavefront_size: 64
amdhsa.target:   amdgcn-amd-amdhsa--gfx906
amdhsa.version:
  - 1
  - 2
...

	.end_amdgpu_metadata
